;; amdgpu-corpus repo=ROCm/rocFFT kind=compiled arch=gfx1030 opt=O3
	.text
	.amdgcn_target "amdgcn-amd-amdhsa--gfx1030"
	.amdhsa_code_object_version 6
	.protected	bluestein_single_fwd_len576_dim1_sp_op_CI_CI ; -- Begin function bluestein_single_fwd_len576_dim1_sp_op_CI_CI
	.globl	bluestein_single_fwd_len576_dim1_sp_op_CI_CI
	.p2align	8
	.type	bluestein_single_fwd_len576_dim1_sp_op_CI_CI,@function
bluestein_single_fwd_len576_dim1_sp_op_CI_CI: ; @bluestein_single_fwd_len576_dim1_sp_op_CI_CI
; %bb.0:
	s_load_dwordx4 s[0:3], s[4:5], 0x28
	v_mul_u32_u24_e32 v1, 0x2ab, v0
	v_mov_b32_e32 v49, 0
	v_lshrrev_b32_e32 v1, 16, v1
	v_add_nc_u32_e32 v48, s6, v1
	s_waitcnt lgkmcnt(0)
	v_cmp_gt_u64_e32 vcc_lo, s[0:1], v[48:49]
	s_and_saveexec_b32 s0, vcc_lo
	s_cbranch_execz .LBB0_15
; %bb.1:
	s_clause 0x1
	s_load_dwordx2 s[14:15], s[4:5], 0x0
	s_load_dwordx2 s[12:13], s[4:5], 0x38
	v_mul_lo_u16 v1, 0x60, v1
	v_sub_nc_u16 v0, v0, v1
	v_and_b32_e32 v54, 0xffff, v0
	v_cmp_gt_u16_e32 vcc_lo, 36, v0
	v_lshlrev_b32_e32 v53, 3, v54
	s_and_saveexec_b32 s1, vcc_lo
	s_cbranch_execz .LBB0_3
; %bb.2:
	s_load_dwordx2 s[6:7], s[4:5], 0x18
	s_waitcnt lgkmcnt(0)
	v_add_co_u32 v24, s0, s14, v53
	v_add_co_ci_u32_e64 v25, null, s15, 0, s0
	v_add_nc_u32_e32 v69, 0x800, v53
	v_add_co_u32 v22, s0, 0x800, v24
	v_add_co_ci_u32_e64 v23, s0, 0, v25, s0
	s_load_dwordx4 s[8:11], s[6:7], 0x0
	s_clause 0x2
	global_load_dwordx2 v[4:5], v53, s[14:15]
	global_load_dwordx2 v[6:7], v53, s[14:15] offset:288
	global_load_dwordx2 v[8:9], v53, s[14:15] offset:576
	s_waitcnt lgkmcnt(0)
	v_mad_u64_u32 v[0:1], null, s10, v48, 0
	v_mad_u64_u32 v[2:3], null, s8, v54, 0
	s_mul_i32 s6, s9, 0x120
	s_mul_hi_u32 s7, s8, 0x120
	s_add_i32 s7, s7, s6
	v_mad_u64_u32 v[10:11], null, s11, v48, v[1:2]
	v_mov_b32_e32 v1, v10
	v_add_co_u32 v10, s0, 0x1000, v24
	v_lshlrev_b64 v[0:1], 3, v[0:1]
	s_waitcnt vmcnt(2)
	v_mad_u64_u32 v[11:12], null, s9, v54, v[3:4]
	s_clause 0x4
	global_load_dwordx2 v[12:13], v53, s[14:15] offset:864
	global_load_dwordx2 v[14:15], v53, s[14:15] offset:1152
	;; [unrolled: 1-line block ×5, first 2 shown]
	v_mov_b32_e32 v3, v11
	v_add_co_ci_u32_e64 v11, s0, 0, v25, s0
	v_add_co_u32 v0, s0, s2, v0
	v_lshlrev_b64 v[2:3], 3, v[2:3]
	v_add_co_ci_u32_e64 v1, s0, s3, v1, s0
	s_mul_i32 s2, s8, 0x120
	s_clause 0x5
	global_load_dwordx2 v[24:25], v[22:23], off offset:256
	global_load_dwordx2 v[26:27], v[22:23], off offset:544
	;; [unrolled: 1-line block ×6, first 2 shown]
	v_add_co_u32 v0, s0, v0, v2
	v_add_co_ci_u32_e64 v1, s0, v1, v3, s0
	v_add_co_u32 v2, s0, v0, s2
	v_add_co_ci_u32_e64 v3, s0, s7, v1, s0
	global_load_dwordx2 v[0:1], v[0:1], off
	v_add_co_u32 v32, s0, v2, s2
	v_add_co_ci_u32_e64 v33, s0, s7, v3, s0
	v_add_co_u32 v38, s0, v32, s2
	v_add_co_ci_u32_e64 v39, s0, s7, v33, s0
	;; [unrolled: 2-line block ×3, first 2 shown]
	s_clause 0x2
	global_load_dwordx2 v[2:3], v[2:3], off
	global_load_dwordx2 v[32:33], v[32:33], off
	;; [unrolled: 1-line block ×3, first 2 shown]
	v_add_co_u32 v42, s0, v40, s2
	v_add_co_ci_u32_e64 v43, s0, s7, v41, s0
	global_load_dwordx2 v[40:41], v[40:41], off
	v_add_co_u32 v44, s0, v42, s2
	v_add_co_ci_u32_e64 v45, s0, s7, v43, s0
	global_load_dwordx2 v[42:43], v[42:43], off
	;; [unrolled: 3-line block ×10, first 2 shown]
	v_add_co_u32 v65, s0, v63, s2
	v_add_co_ci_u32_e64 v66, s0, s7, v64, s0
	global_load_dwordx2 v[22:23], v[22:23], off offset:1984
	global_load_dwordx2 v[63:64], v[63:64], off
	global_load_dwordx2 v[10:11], v[10:11], off offset:224
	global_load_dwordx2 v[65:66], v[65:66], off
	s_waitcnt vmcnt(17)
	v_mul_f32_e32 v67, v1, v5
	v_mul_f32_e32 v5, v0, v5
	v_fmac_f32_e32 v67, v0, v4
	v_fma_f32 v68, v1, v4, -v5
	s_waitcnt vmcnt(16)
	v_mul_f32_e32 v0, v3, v7
	v_mul_f32_e32 v1, v2, v7
	s_waitcnt vmcnt(15)
	v_mul_f32_e32 v4, v33, v9
	v_mul_f32_e32 v5, v32, v9
	s_waitcnt vmcnt(14)
	v_mul_f32_e32 v7, v38, v13
	v_fmac_f32_e32 v0, v2, v6
	v_mul_f32_e32 v2, v39, v13
	v_fma_f32 v1, v3, v6, -v1
	v_fmac_f32_e32 v4, v32, v8
	v_fma_f32 v5, v33, v8, -v5
	v_fma_f32 v3, v39, v12, -v7
	s_waitcnt vmcnt(13)
	v_mul_f32_e32 v7, v40, v15
	v_mul_f32_e32 v6, v41, v15
	s_waitcnt vmcnt(12)
	v_mul_f32_e32 v9, v42, v17
	v_mul_f32_e32 v8, v43, v17
	v_fmac_f32_e32 v2, v38, v12
	v_fma_f32 v7, v41, v14, -v7
	v_fmac_f32_e32 v6, v40, v14
	v_fma_f32 v9, v43, v16, -v9
	v_fmac_f32_e32 v8, v42, v16
	ds_write2_b64 v53, v[67:68], v[0:1] offset1:36
	ds_write2_b64 v53, v[4:5], v[2:3] offset0:72 offset1:108
	s_waitcnt vmcnt(11)
	v_mul_f32_e32 v0, v45, v19
	v_mul_f32_e32 v1, v44, v19
	s_waitcnt vmcnt(10)
	v_mul_f32_e32 v2, v47, v21
	v_mul_f32_e32 v3, v46, v21
	ds_write2_b64 v53, v[6:7], v[8:9] offset0:144 offset1:180
	v_fmac_f32_e32 v0, v44, v18
	s_waitcnt vmcnt(9)
	v_mul_f32_e32 v4, v50, v25
	v_mul_f32_e32 v5, v49, v25
	v_fma_f32 v1, v45, v18, -v1
	v_fmac_f32_e32 v2, v46, v20
	v_fma_f32 v3, v47, v20, -v3
	s_waitcnt vmcnt(8)
	v_mul_f32_e32 v6, v52, v27
	v_mul_f32_e32 v7, v51, v27
	v_fmac_f32_e32 v4, v49, v24
	v_fma_f32 v5, v50, v24, -v5
	s_waitcnt vmcnt(7)
	v_mul_f32_e32 v8, v56, v29
	v_mul_f32_e32 v9, v55, v29
	;; [unrolled: 5-line block ×5, first 2 shown]
	v_fmac_f32_e32 v14, v59, v34
	s_waitcnt vmcnt(2)
	v_mul_f32_e32 v18, v64, v23
	v_mul_f32_e32 v19, v63, v23
	s_waitcnt vmcnt(0)
	v_mul_f32_e32 v20, v66, v11
	v_mul_f32_e32 v11, v65, v11
	v_fma_f32 v15, v60, v34, -v15
	v_fmac_f32_e32 v16, v61, v36
	v_fma_f32 v17, v62, v36, -v17
	v_fmac_f32_e32 v18, v63, v22
	;; [unrolled: 2-line block ×3, first 2 shown]
	v_fma_f32 v21, v66, v10, -v11
	v_add_nc_u32_e32 v10, 0xc00, v53
	ds_write2_b64 v53, v[0:1], v[2:3] offset0:216 offset1:252
	ds_write2_b64 v69, v[4:5], v[6:7] offset0:32 offset1:68
	ds_write2_b64 v69, v[8:9], v[12:13] offset0:104 offset1:140
	ds_write2_b64 v69, v[14:15], v[16:17] offset0:176 offset1:212
	ds_write2_b64 v10, v[18:19], v[20:21] offset0:120 offset1:156
.LBB0_3:
	s_or_b32 exec_lo, exec_lo, s1
	s_load_dwordx2 s[0:1], s[4:5], 0x20
	s_waitcnt lgkmcnt(0)
	s_barrier
	buffer_gl0_inv
                                        ; implicit-def: $vgpr14
                                        ; implicit-def: $vgpr26
                                        ; implicit-def: $vgpr22
                                        ; implicit-def: $vgpr30
                                        ; implicit-def: $vgpr18
                                        ; implicit-def: $vgpr10
                                        ; implicit-def: $vgpr6
                                        ; implicit-def: $vgpr2
	s_and_saveexec_b32 s2, vcc_lo
	s_cbranch_execz .LBB0_5
; %bb.4:
	v_add_nc_u32_e32 v12, 0x800, v53
	v_add_nc_u32_e32 v13, 0xc00, v53
	ds_read2_b64 v[0:3], v53 offset1:36
	ds_read2_b64 v[4:7], v53 offset0:72 offset1:108
	ds_read2_b64 v[8:11], v53 offset0:144 offset1:180
	;; [unrolled: 1-line block ×7, first 2 shown]
.LBB0_5:
	s_or_b32 exec_lo, exec_lo, s2
	s_waitcnt lgkmcnt(3)
	v_sub_f32_e32 v30, v2, v30
	s_waitcnt lgkmcnt(1)
	v_sub_f32_e32 v26, v10, v26
	v_sub_f32_e32 v22, v6, v22
	s_waitcnt lgkmcnt(0)
	v_sub_f32_e32 v14, v18, v14
	v_sub_f32_e32 v28, v0, v28
	;; [unrolled: 1-line block ×9, first 2 shown]
	v_fma_f32 v2, v2, 2.0, -v30
	v_sub_f32_e32 v27, v11, v27
	v_fma_f32 v10, v10, 2.0, -v26
	v_fma_f32 v6, v6, 2.0, -v22
	;; [unrolled: 1-line block ×3, first 2 shown]
	v_sub_f32_e32 v25, v9, v25
	v_fma_f32 v0, v0, 2.0, -v28
	v_fma_f32 v8, v8, 2.0, -v24
	;; [unrolled: 1-line block ×6, first 2 shown]
	v_sub_f32_e32 v15, v19, v15
	v_add_f32_e32 v24, v24, v29
	v_sub_f32_e32 v13, v20, v13
	v_add_f32_e32 v12, v12, v21
	v_sub_f32_e32 v34, v2, v10
	v_sub_f32_e32 v18, v6, v18
	v_fma_f32 v1, v1, 2.0, -v29
	v_fma_f32 v9, v9, 2.0, -v25
	;; [unrolled: 1-line block ×4, first 2 shown]
	v_sub_f32_e32 v23, v7, v23
	v_sub_f32_e32 v32, v0, v8
	v_fma_f32 v8, v19, 2.0, -v15
	v_sub_f32_e32 v19, v28, v25
	v_sub_f32_e32 v35, v3, v11
	v_fma_f32 v10, v20, 2.0, -v13
	v_fma_f32 v11, v21, 2.0, -v12
	;; [unrolled: 1-line block ×3, first 2 shown]
	v_sub_f32_e32 v21, v30, v27
	v_sub_f32_e32 v15, v22, v15
	v_fma_f32 v37, v6, 2.0, -v18
	v_fmamk_f32 v42, v12, 0x3f3504f3, v24
	v_fma_f32 v7, v7, 2.0, -v23
	v_sub_f32_e32 v9, v1, v9
	v_sub_f32_e32 v16, v4, v16
	v_add_f32_e32 v26, v26, v31
	v_fma_f32 v30, v30, 2.0, -v21
	v_add_f32_e32 v14, v14, v23
	v_fma_f32 v22, v22, 2.0, -v15
	v_fmamk_f32 v39, v13, 0x3f3504f3, v19
	v_fmac_f32_e32 v42, 0x3f3504f3, v13
	v_sub_f32_e32 v13, v20, v37
	v_fma_f32 v25, v0, 2.0, -v32
	v_fma_f32 v28, v28, 2.0, -v19
	;; [unrolled: 1-line block ×3, first 2 shown]
	v_sub_f32_e32 v17, v5, v17
	v_fma_f32 v0, v4, 2.0, -v16
	v_sub_f32_e32 v36, v7, v8
	v_fma_f32 v31, v31, 2.0, -v26
	v_fma_f32 v23, v23, 2.0, -v14
	v_add_f32_e32 v41, v16, v9
	v_fmac_f32_e32 v39, 0xbf3504f3, v12
	v_fmamk_f32 v12, v22, 0xbf3504f3, v30
	v_fma_f32 v16, v20, 2.0, -v13
	v_fmamk_f32 v20, v15, 0x3f3504f3, v21
	v_fma_f32 v33, v1, 2.0, -v9
	v_fma_f32 v1, v5, 2.0, -v17
	;; [unrolled: 1-line block ×4, first 2 shown]
	v_fmamk_f32 v3, v10, 0xbf3504f3, v28
	v_sub_f32_e32 v0, v25, v0
	v_fmamk_f32 v5, v11, 0xbf3504f3, v29
	v_fmamk_f32 v37, v23, 0xbf3504f3, v31
	v_fmac_f32_e32 v12, 0xbf3504f3, v23
	v_fmamk_f32 v23, v14, 0x3f3504f3, v26
	v_fmac_f32_e32 v20, 0xbf3504f3, v14
	s_load_dwordx2 s[2:3], s[4:5], 0x8
	v_sub_f32_e32 v4, v33, v1
	v_fmac_f32_e32 v3, 0xbf3504f3, v11
	v_fma_f32 v1, v25, 2.0, -v0
	v_fmac_f32_e32 v5, 0x3f3504f3, v10
	v_sub_f32_e32 v40, v32, v17
	v_fma_f32 v10, v19, 2.0, -v39
	v_sub_f32_e32 v25, v27, v38
	v_fmac_f32_e32 v37, 0x3f3504f3, v22
	v_sub_f32_e32 v36, v34, v36
	v_add_f32_e32 v38, v18, v35
	v_fmac_f32_e32 v23, 0x3f3504f3, v15
	v_fma_f32 v21, v21, 2.0, -v20
	v_fma_f32 v2, v33, 2.0, -v4
	;; [unrolled: 1-line block ×12, first 2 shown]
	v_fmamk_f32 v30, v21, 0xbec3ef15, v10
	v_fmamk_f32 v32, v36, 0x3f3504f3, v40
	;; [unrolled: 1-line block ×5, first 2 shown]
	v_fma_f32 v17, v27, 2.0, -v25
	v_fmamk_f32 v18, v22, 0xbf6c835e, v6
	v_fmamk_f32 v19, v14, 0xbf6c835e, v8
	;; [unrolled: 1-line block ×5, first 2 shown]
	v_fmac_f32_e32 v30, 0xbf6c835e, v26
	v_fmamk_f32 v26, v12, 0x3ec3ef15, v3
	v_fmamk_f32 v27, v37, 0x3ec3ef15, v5
	v_fmac_f32_e32 v32, 0xbf3504f3, v38
	v_fmac_f32_e32 v33, 0x3f3504f3, v36
	;; [unrolled: 1-line block ×4, first 2 shown]
	v_sub_f32_e32 v16, v1, v16
	v_sub_f32_e32 v17, v2, v17
	v_fmac_f32_e32 v18, 0xbec3ef15, v14
	v_fmac_f32_e32 v19, 0x3ec3ef15, v22
	;; [unrolled: 1-line block ×5, first 2 shown]
	v_sub_f32_e32 v24, v0, v25
	v_add_f32_e32 v25, v13, v4
	v_fmac_f32_e32 v26, 0xbf6c835e, v37
	v_fmac_f32_e32 v27, 0x3f6c835e, v12
	v_fma_f32 v20, v40, 2.0, -v32
	v_fma_f32 v21, v41, 2.0, -v33
	;; [unrolled: 1-line block ×4, first 2 shown]
	v_lshlrev_b16 v55, 4, v54
	s_waitcnt lgkmcnt(0)
	s_barrier
	buffer_gl0_inv
	s_and_saveexec_b32 s4, vcc_lo
	s_cbranch_execz .LBB0_7
; %bb.6:
	v_fma_f32 v13, v3, 2.0, -v26
	v_fma_f32 v3, v9, 2.0, -v29
	v_mov_b32_e32 v9, 3
	v_fma_f32 v39, v8, 2.0, -v19
	v_fma_f32 v38, v6, 2.0, -v18
	;; [unrolled: 1-line block ×4, first 2 shown]
	v_lshlrev_b32_sdwa v1, v9, v55 dst_sel:DWORD dst_unused:UNUSED_PAD src0_sel:DWORD src1_sel:WORD_0
	v_fma_f32 v14, v5, 2.0, -v27
	v_fma_f32 v12, v4, 2.0, -v25
	;; [unrolled: 1-line block ×6, first 2 shown]
	ds_write_b128 v1, v[36:39]
	ds_write_b128 v1, v[2:5] offset:16
	ds_write_b128 v1, v[11:14] offset:32
	;; [unrolled: 1-line block ×7, first 2 shown]
.LBB0_7:
	s_or_b32 exec_lo, exec_lo, s4
	v_and_b32_e32 v40, 15, v54
	s_load_dwordx4 s[4:7], s[0:1], 0x0
	s_waitcnt lgkmcnt(0)
	s_barrier
	buffer_gl0_inv
	v_mad_u64_u32 v[8:9], null, v40, 40, s[2:3]
	v_add_nc_u32_e32 v58, 0x400, v53
	v_add_nc_u32_e32 v57, 0x800, v53
	v_lshrrev_b32_e32 v41, 4, v54
	s_clause 0x2
	global_load_dwordx4 v[4:7], v[8:9], off
	global_load_dwordx4 v[0:3], v[8:9], off offset:16
	global_load_dwordx2 v[49:50], v[8:9], off offset:32
	ds_read2_b64 v[8:11], v53 offset1:96
	ds_read2_b64 v[12:15], v58 offset0:64 offset1:160
	ds_read2_b64 v[36:39], v57 offset0:128 offset1:224
	v_mul_u32_u24_e32 v41, 0x60, v41
	s_waitcnt vmcnt(0) lgkmcnt(0)
	s_barrier
	buffer_gl0_inv
	v_or_b32_e32 v42, v41, v40
	v_mad_u64_u32 v[40:41], null, v54, 40, s[2:3]
	v_lshlrev_b32_e32 v56, 3, v42
	v_mul_f32_e32 v42, v11, v5
	v_mul_f32_e32 v43, v10, v5
	;; [unrolled: 1-line block ×10, first 2 shown]
	v_fma_f32 v42, v10, v4, -v42
	v_fmac_f32_e32 v43, v11, v4
	v_fma_f32 v10, v12, v6, -v44
	v_fmac_f32_e32 v45, v13, v6
	;; [unrolled: 2-line block ×5, first 2 shown]
	v_add_f32_e32 v37, v9, v45
	v_add_f32_e32 v15, v10, v12
	v_sub_f32_e32 v36, v45, v52
	v_add_f32_e32 v38, v45, v52
	v_add_f32_e32 v44, v11, v13
	v_sub_f32_e32 v45, v47, v60
	v_add_f32_e32 v46, v43, v47
	v_add_f32_e32 v47, v47, v60
	;; [unrolled: 1-line block ×4, first 2 shown]
	v_sub_f32_e32 v11, v11, v13
	v_fma_f32 v51, -0.5, v15, v8
	v_fmac_f32_e32 v42, -0.5, v44
	v_fmac_f32_e32 v43, -0.5, v47
	v_sub_f32_e32 v10, v10, v12
	v_add_f32_e32 v12, v14, v12
	v_add_f32_e32 v14, v37, v52
	v_fma_f32 v52, -0.5, v38, v9
	v_fmamk_f32 v37, v36, 0x3f5db3d7, v51
	v_fmac_f32_e32 v51, 0xbf5db3d7, v36
	v_fmamk_f32 v36, v45, 0x3f5db3d7, v42
	v_fmamk_f32 v38, v11, 0xbf5db3d7, v43
	v_fmac_f32_e32 v42, 0xbf5db3d7, v45
	v_fmac_f32_e32 v43, 0x3f5db3d7, v11
	v_add_f32_e32 v15, v46, v60
	v_mul_f32_e32 v46, 0xbf5db3d7, v36
	v_mul_f32_e32 v44, 0x3f5db3d7, v38
	v_mul_f32_e32 v45, -0.5, v42
	v_mul_f32_e32 v47, -0.5, v43
	v_add_f32_e32 v13, v39, v13
	v_fmamk_f32 v39, v10, 0xbf5db3d7, v52
	v_fmac_f32_e32 v44, 0.5, v36
	v_fmac_f32_e32 v46, 0.5, v38
	v_fmac_f32_e32 v52, 0x3f5db3d7, v10
	v_fmac_f32_e32 v45, 0x3f5db3d7, v43
	v_fmac_f32_e32 v47, 0xbf5db3d7, v42
	v_add_f32_e32 v8, v12, v13
	v_add_f32_e32 v9, v14, v15
	v_sub_f32_e32 v10, v12, v13
	v_add_f32_e32 v12, v37, v44
	v_add_f32_e32 v13, v39, v46
	v_sub_f32_e32 v11, v14, v15
	;; [unrolled: 3-line block ×3, first 2 shown]
	v_sub_f32_e32 v38, v51, v45
	v_sub_f32_e32 v37, v39, v46
	;; [unrolled: 1-line block ×3, first 2 shown]
	ds_write2_b64 v56, v[8:9], v[12:13] offset1:16
	ds_write2_b64 v56, v[14:15], v[10:11] offset0:32 offset1:48
	ds_write2_b64 v56, v[36:37], v[38:39] offset0:64 offset1:80
	s_waitcnt lgkmcnt(0)
	s_barrier
	buffer_gl0_inv
	s_clause 0x2
	global_load_dwordx4 v[12:15], v[40:41], off offset:640
	global_load_dwordx4 v[8:11], v[40:41], off offset:656
	global_load_dwordx2 v[51:52], v[40:41], off offset:672
	ds_read2_b64 v[36:39], v53 offset1:96
	ds_read2_b64 v[40:43], v58 offset0:64 offset1:160
	ds_read2_b64 v[44:47], v57 offset0:128 offset1:224
	s_waitcnt vmcnt(2) lgkmcnt(2)
	v_mul_f32_e32 v60, v38, v13
	s_waitcnt lgkmcnt(1)
	v_mul_f32_e32 v61, v41, v15
	v_mul_f32_e32 v62, v40, v15
	s_waitcnt vmcnt(1)
	v_mul_f32_e32 v63, v43, v9
	v_mul_f32_e32 v64, v42, v9
	s_waitcnt lgkmcnt(0)
	v_mul_f32_e32 v65, v45, v11
	v_mul_f32_e32 v66, v44, v11
	s_waitcnt vmcnt(0)
	v_mul_f32_e32 v67, v47, v52
	v_mul_f32_e32 v68, v46, v52
	;; [unrolled: 1-line block ×3, first 2 shown]
	v_fmac_f32_e32 v60, v39, v12
	v_fma_f32 v39, v40, v14, -v61
	v_fmac_f32_e32 v62, v41, v14
	v_fma_f32 v40, v42, v8, -v63
	v_fmac_f32_e32 v64, v43, v8
	v_fma_f32 v41, v44, v10, -v65
	v_fmac_f32_e32 v66, v45, v10
	v_fma_f32 v42, v46, v51, -v67
	v_fmac_f32_e32 v68, v47, v51
	v_fma_f32 v38, v38, v12, -v59
	v_add_f32_e32 v43, v36, v39
	v_add_f32_e32 v44, v39, v41
	v_sub_f32_e32 v45, v62, v66
	v_add_f32_e32 v46, v37, v62
	v_add_f32_e32 v47, v62, v66
	;; [unrolled: 1-line block ×3, first 2 shown]
	v_sub_f32_e32 v62, v64, v68
	v_add_f32_e32 v63, v60, v64
	v_add_f32_e32 v64, v64, v68
	v_sub_f32_e32 v39, v39, v41
	v_add_f32_e32 v59, v38, v40
	v_sub_f32_e32 v40, v40, v42
	v_add_f32_e32 v41, v43, v41
	v_fma_f32 v43, -0.5, v44, v36
	v_fma_f32 v65, -0.5, v47, v37
	v_fmac_f32_e32 v38, -0.5, v61
	v_fmac_f32_e32 v60, -0.5, v64
	v_add_f32_e32 v42, v59, v42
	v_fmamk_f32 v59, v45, 0x3f5db3d7, v43
	v_fmac_f32_e32 v43, 0xbf5db3d7, v45
	v_fmamk_f32 v61, v39, 0xbf5db3d7, v65
	v_fmac_f32_e32 v65, 0x3f5db3d7, v39
	v_fmamk_f32 v39, v62, 0x3f5db3d7, v38
	v_fmamk_f32 v45, v40, 0xbf5db3d7, v60
	v_fmac_f32_e32 v38, 0xbf5db3d7, v62
	v_fmac_f32_e32 v60, 0x3f5db3d7, v40
	v_add_f32_e32 v47, v63, v68
	v_mul_f32_e32 v63, 0xbf5db3d7, v39
	v_mul_f32_e32 v40, 0x3f5db3d7, v45
	v_mul_f32_e32 v62, -0.5, v38
	v_mul_f32_e32 v64, -0.5, v60
	v_add_f32_e32 v44, v46, v66
	v_fmac_f32_e32 v63, 0.5, v45
	v_fmac_f32_e32 v40, 0.5, v39
	v_fmac_f32_e32 v62, 0x3f5db3d7, v60
	v_fmac_f32_e32 v64, 0xbf5db3d7, v38
	v_add_f32_e32 v36, v41, v42
	v_add_f32_e32 v37, v44, v47
	v_sub_f32_e32 v46, v41, v42
	v_sub_f32_e32 v47, v44, v47
	v_add_f32_e32 v38, v59, v40
	v_add_f32_e32 v44, v43, v62
	v_add_f32_e32 v39, v61, v63
	v_add_f32_e32 v45, v65, v64
	v_sub_f32_e32 v40, v59, v40
	v_sub_f32_e32 v42, v43, v62
	;; [unrolled: 1-line block ×4, first 2 shown]
	ds_write2_b64 v53, v[36:37], v[38:39] offset1:96
	ds_write2_b64 v58, v[44:45], v[46:47] offset0:64 offset1:160
	ds_write2_b64 v57, v[40:41], v[42:43] offset0:128 offset1:224
	s_waitcnt lgkmcnt(0)
	s_barrier
	buffer_gl0_inv
	s_and_saveexec_b32 s1, vcc_lo
	s_cbranch_execz .LBB0_9
; %bb.8:
	v_add_co_u32 v66, s0, s14, v53
	v_add_co_ci_u32_e64 v67, null, s15, 0, s0
	v_add_co_u32 v58, s0, 0x1000, v66
	v_add_co_ci_u32_e64 v59, s0, 0, v67, s0
	v_add_co_u32 v60, s0, 0x1200, v66
	v_add_co_ci_u32_e64 v61, s0, 0, v67, s0
	s_clause 0x7
	global_load_dwordx2 v[62:63], v[58:59], off offset:512
	global_load_dwordx2 v[64:65], v[60:61], off offset:288
	global_load_dwordx2 v[70:71], v[60:61], off offset:576
	global_load_dwordx2 v[72:73], v[60:61], off offset:864
	global_load_dwordx2 v[74:75], v[60:61], off offset:1152
	global_load_dwordx2 v[76:77], v[60:61], off offset:1440
	global_load_dwordx2 v[78:79], v[60:61], off offset:1728
	global_load_dwordx2 v[80:81], v[60:61], off offset:2016
	v_add_co_u32 v58, s0, 0x1800, v66
	v_add_co_ci_u32_e64 v59, s0, 0, v67, s0
	v_add_co_u32 v60, s0, 0x2000, v66
	s_clause 0x1
	global_load_dwordx2 v[82:83], v[58:59], off offset:768
	global_load_dwordx2 v[84:85], v[58:59], off offset:1056
	v_add_co_ci_u32_e64 v61, s0, 0, v67, s0
	s_clause 0x5
	global_load_dwordx2 v[86:87], v[58:59], off offset:1344
	global_load_dwordx2 v[88:89], v[58:59], off offset:1632
	;; [unrolled: 1-line block ×6, first 2 shown]
	ds_read2_b64 v[58:61], v53 offset1:36
	s_waitcnt vmcnt(15) lgkmcnt(0)
	v_mul_f32_e32 v67, v59, v63
	v_mul_f32_e32 v66, v58, v63
	s_waitcnt vmcnt(14)
	v_mul_f32_e32 v68, v61, v65
	v_mul_f32_e32 v63, v60, v65
	v_fma_f32 v65, v58, v62, -v67
	v_fmac_f32_e32 v66, v59, v62
	v_fma_f32 v62, v60, v64, -v68
	v_fmac_f32_e32 v63, v61, v64
	ds_write2_b64 v53, v[65:66], v[62:63] offset1:36
	ds_read2_b64 v[58:61], v53 offset0:72 offset1:108
	ds_read2_b64 v[62:65], v53 offset0:144 offset1:180
	;; [unrolled: 1-line block ×3, first 2 shown]
	s_waitcnt vmcnt(13) lgkmcnt(2)
	v_mul_f32_e32 v98, v59, v71
	v_mul_f32_e32 v99, v58, v71
	s_waitcnt vmcnt(12)
	v_mul_f32_e32 v100, v61, v73
	v_mul_f32_e32 v71, v60, v73
	s_waitcnt vmcnt(11) lgkmcnt(1)
	v_mul_f32_e32 v101, v63, v75
	v_mul_f32_e32 v73, v62, v75
	s_waitcnt vmcnt(10)
	v_mul_f32_e32 v102, v65, v77
	v_mul_f32_e32 v75, v64, v77
	;; [unrolled: 6-line block ×3, first 2 shown]
	v_fma_f32 v98, v58, v70, -v98
	v_fmac_f32_e32 v99, v59, v70
	v_fma_f32 v70, v60, v72, -v100
	v_fmac_f32_e32 v71, v61, v72
	;; [unrolled: 2-line block ×6, first 2 shown]
	ds_write2_b64 v53, v[98:99], v[70:71] offset0:72 offset1:108
	ds_write2_b64 v53, v[72:73], v[74:75] offset0:144 offset1:180
	;; [unrolled: 1-line block ×3, first 2 shown]
	ds_read2_b64 v[58:61], v57 offset0:32 offset1:68
	s_waitcnt vmcnt(7) lgkmcnt(0)
	v_mul_f32_e32 v62, v59, v83
	v_mul_f32_e32 v63, v58, v83
	s_waitcnt vmcnt(6)
	v_mul_f32_e32 v64, v61, v85
	v_mul_f32_e32 v65, v60, v85
	v_fma_f32 v62, v58, v82, -v62
	v_fmac_f32_e32 v63, v59, v82
	v_fma_f32 v64, v60, v84, -v64
	v_fmac_f32_e32 v65, v61, v84
	v_add_nc_u32_e32 v82, 0xc00, v53
	ds_write2_b64 v57, v[62:63], v[64:65] offset0:32 offset1:68
	ds_read2_b64 v[58:61], v57 offset0:104 offset1:140
	ds_read2_b64 v[62:65], v57 offset0:176 offset1:212
	;; [unrolled: 1-line block ×3, first 2 shown]
	s_waitcnt vmcnt(5) lgkmcnt(2)
	v_mul_f32_e32 v70, v59, v87
	v_mul_f32_e32 v71, v58, v87
	s_waitcnt vmcnt(4)
	v_mul_f32_e32 v72, v61, v89
	v_mul_f32_e32 v73, v60, v89
	s_waitcnt vmcnt(3) lgkmcnt(1)
	v_mul_f32_e32 v74, v63, v91
	v_mul_f32_e32 v75, v62, v91
	s_waitcnt vmcnt(2)
	v_mul_f32_e32 v76, v65, v93
	v_mul_f32_e32 v77, v64, v93
	;; [unrolled: 6-line block ×3, first 2 shown]
	v_fma_f32 v70, v58, v86, -v70
	v_fmac_f32_e32 v71, v59, v86
	v_fma_f32 v72, v60, v88, -v72
	v_fmac_f32_e32 v73, v61, v88
	;; [unrolled: 2-line block ×6, first 2 shown]
	ds_write2_b64 v57, v[70:71], v[72:73] offset0:104 offset1:140
	ds_write2_b64 v57, v[74:75], v[76:77] offset0:176 offset1:212
	;; [unrolled: 1-line block ×3, first 2 shown]
.LBB0_9:
	s_or_b32 exec_lo, exec_lo, s1
	s_waitcnt lgkmcnt(0)
	s_barrier
	buffer_gl0_inv
	s_and_saveexec_b32 s0, vcc_lo
	s_cbranch_execz .LBB0_11
; %bb.10:
	v_add_nc_u32_e32 v24, 0x800, v53
	v_add_nc_u32_e32 v32, 0xc00, v53
	ds_read2_b64 v[36:39], v53 offset1:36
	ds_read2_b64 v[44:47], v53 offset0:72 offset1:108
	ds_read2_b64 v[40:43], v53 offset0:144 offset1:180
	ds_read2_b64 v[20:23], v53 offset0:216 offset1:252
	ds_read2_b64 v[16:19], v24 offset0:32 offset1:68
	ds_read2_b64 v[28:31], v24 offset0:104 offset1:140
	ds_read2_b64 v[24:27], v24 offset0:176 offset1:212
	ds_read2_b64 v[32:35], v32 offset0:120 offset1:156
.LBB0_11:
	s_or_b32 exec_lo, exec_lo, s0
	s_waitcnt lgkmcnt(0)
	s_barrier
	buffer_gl0_inv
	s_and_saveexec_b32 s0, vcc_lo
	s_cbranch_execz .LBB0_13
; %bb.12:
	v_sub_f32_e32 v29, v45, v29
	v_sub_f32_e32 v32, v20, v32
	;; [unrolled: 1-line block ×20, first 2 shown]
	v_fma_f32 v20, v20, 2.0, -v32
	v_fma_f32 v32, v39, 2.0, -v34
	;; [unrolled: 1-line block ×4, first 2 shown]
	v_fmamk_f32 v63, v58, 0x3f3504f3, v59
	v_add_f32_e32 v64, v33, v28
	v_fmamk_f32 v65, v60, 0x3f3504f3, v61
	v_add_f32_e32 v66, v35, v30
	v_add_f32_e32 v67, v27, v62
	;; [unrolled: 1-line block ×3, first 2 shown]
	v_fma_f32 v25, v37, 2.0, -v57
	v_fma_f32 v37, v44, 2.0, -v28
	;; [unrolled: 1-line block ×3, first 2 shown]
	v_sub_f32_e32 v44, v39, v17
	v_fma_f32 v17, v23, 2.0, -v35
	v_fma_f32 v35, v38, 2.0, -v62
	;; [unrolled: 1-line block ×3, first 2 shown]
	v_fmac_f32_e32 v63, 0xbf3504f3, v64
	v_fmac_f32_e32 v65, 0xbf3504f3, v66
	v_fmamk_f32 v68, v66, 0x3f3504f3, v67
	v_fmamk_f32 v70, v64, 0x3f3504f3, v69
	v_sub_f32_e32 v43, v32, v27
	v_sub_f32_e32 v71, v35, v22
	v_fma_f32 v21, v21, 2.0, -v33
	v_fma_f32 v33, v36, 2.0, -v16
	;; [unrolled: 1-line block ×7, first 2 shown]
	v_fmamk_f32 v19, v65, 0x3f6c835e, v63
	v_fmac_f32_e32 v68, 0x3f3504f3, v60
	v_fma_f32 v18, v41, 2.0, -v18
	v_fmac_f32_e32 v70, 0x3f3504f3, v58
	v_fma_f32 v46, v47, 2.0, -v31
	v_fma_f32 v45, v45, 2.0, -v29
	;; [unrolled: 1-line block ×6, first 2 shown]
	v_fmamk_f32 v40, v22, 0xbf3504f3, v36
	v_fmamk_f32 v60, v27, 0xbf3504f3, v28
	v_fmac_f32_e32 v19, 0xbec3ef15, v68
	v_sub_f32_e32 v41, v25, v18
	v_sub_f32_e32 v20, v37, v20
	v_sub_f32_e32 v47, v46, v17
	v_sub_f32_e32 v21, v45, v21
	v_fmamk_f32 v62, v29, 0xbf3504f3, v57
	v_sub_f32_e32 v66, v33, v16
	v_fmac_f32_e32 v40, 0xbf3504f3, v26
	v_fmac_f32_e32 v60, 0xbf3504f3, v29
	v_sub_f32_e32 v38, v41, v20
	v_sub_f32_e32 v42, v43, v44
	v_fma_f32 v23, v63, 2.0, -v19
	v_add_f32_e32 v72, v47, v71
	v_fmamk_f32 v64, v26, 0xbf3504f3, v58
	v_fmac_f32_e32 v62, 0x3f3504f3, v27
	v_add_f32_e32 v73, v21, v66
	v_fmamk_f32 v27, v60, 0x3ec3ef15, v40
	v_fma_f32 v74, v25, 2.0, -v41
	v_fma_f32 v21, v45, 2.0, -v21
	;; [unrolled: 1-line block ×8, first 2 shown]
	v_fmamk_f32 v17, v42, 0x3f3504f3, v38
	v_fmac_f32_e32 v64, 0x3f3504f3, v22
	v_fmamk_f32 v16, v72, 0x3f3504f3, v73
	v_fmac_f32_e32 v27, 0xbf6c835e, v62
	v_sub_f32_e32 v44, v74, v21
	v_sub_f32_e32 v75, v45, v24
	v_fma_f32 v59, v61, 2.0, -v65
	v_fma_f32 v61, v33, 2.0, -v66
	;; [unrolled: 1-line block ×6, first 2 shown]
	v_fmamk_f32 v34, v29, 0xbec3ef15, v32
	v_fmac_f32_e32 v17, 0xbf3504f3, v72
	v_fmac_f32_e32 v16, 0x3f3504f3, v42
	v_fma_f32 v31, v40, 2.0, -v27
	v_sub_f32_e32 v25, v44, v75
	v_fmamk_f32 v35, v59, 0xbec3ef15, v39
	v_sub_f32_e32 v20, v61, v20
	v_sub_f32_e32 v46, v63, v24
	v_fmamk_f32 v33, v41, 0xbf3504f3, v37
	v_fma_f32 v42, v71, 2.0, -v72
	v_fmac_f32_e32 v34, 0x3f6c835e, v59
	v_fma_f32 v59, v66, 2.0, -v73
	v_fma_f32 v36, v36, 2.0, -v40
	;; [unrolled: 1-line block ×6, first 2 shown]
	v_fmac_f32_e32 v35, 0xbf6c835e, v29
	v_fma_f32 v29, v44, 2.0, -v25
	v_add_f32_e32 v24, v46, v20
	v_fmac_f32_e32 v33, 0xbf3504f3, v42
	v_fma_f32 v38, v32, 2.0, -v34
	v_fmamk_f32 v32, v42, 0xbf3504f3, v59
	v_fmamk_f32 v43, v28, 0xbf6c835e, v36
	;; [unrolled: 1-line block ×3, first 2 shown]
	v_fma_f32 v44, v74, 2.0, -v44
	v_fma_f32 v46, v63, 2.0, -v46
	;; [unrolled: 1-line block ×4, first 2 shown]
	v_fmamk_f32 v26, v62, 0x3ec3ef15, v64
	v_fmamk_f32 v18, v68, 0x3f6c835e, v70
	v_fmac_f32_e32 v32, 0x3f3504f3, v41
	v_fmac_f32_e32 v43, 0xbec3ef15, v40
	;; [unrolled: 1-line block ×3, first 2 shown]
	v_sub_f32_e32 v41, v44, v46
	v_sub_f32_e32 v40, v58, v45
	v_mov_b32_e32 v28, 3
	v_fmac_f32_e32 v26, 0x3f6c835e, v60
	v_fmac_f32_e32 v18, 0x3ec3ef15, v65
	v_fma_f32 v47, v36, 2.0, -v43
	v_fma_f32 v46, v57, 2.0, -v42
	;; [unrolled: 1-line block ×4, first 2 shown]
	v_lshlrev_b32_sdwa v55, v28, v55 dst_sel:DWORD dst_unused:UNUSED_PAD src0_sel:DWORD src1_sel:WORD_0
	v_fma_f32 v39, v39, 2.0, -v35
	v_fma_f32 v37, v37, 2.0, -v33
	;; [unrolled: 1-line block ×7, first 2 shown]
	ds_write_b128 v55, v[44:47]
	ds_write_b128 v55, v[36:39] offset:16
	ds_write_b128 v55, v[28:31] offset:32
	;; [unrolled: 1-line block ×7, first 2 shown]
.LBB0_13:
	s_or_b32 exec_lo, exec_lo, s0
	s_waitcnt lgkmcnt(0)
	s_barrier
	buffer_gl0_inv
	ds_read2_b64 v[18:21], v53 offset1:96
	v_add_nc_u32_e32 v17, 0x400, v53
	v_add_nc_u32_e32 v16, 0x800, v53
	ds_read2_b64 v[22:25], v17 offset0:64 offset1:160
	ds_read2_b64 v[26:29], v16 offset0:128 offset1:224
	s_waitcnt lgkmcnt(0)
	s_barrier
	buffer_gl0_inv
	v_mul_f32_e32 v30, v5, v21
	v_mul_f32_e32 v5, v5, v20
	v_fmac_f32_e32 v30, v4, v20
	v_fma_f32 v4, v4, v21, -v5
	v_mul_f32_e32 v20, v1, v25
	v_mul_f32_e32 v1, v1, v24
	;; [unrolled: 1-line block ×8, first 2 shown]
	v_fmac_f32_e32 v20, v0, v24
	v_fma_f32 v0, v0, v25, -v1
	v_fmac_f32_e32 v21, v2, v26
	v_fma_f32 v1, v2, v27, -v3
	v_fma_f32 v2, v49, v29, -v32
	v_fmac_f32_e32 v5, v6, v22
	v_fma_f32 v6, v6, v23, -v7
	v_fmac_f32_e32 v31, v49, v28
	v_add_f32_e32 v25, v4, v0
	v_add_f32_e32 v26, v0, v2
	;; [unrolled: 1-line block ×4, first 2 shown]
	v_sub_f32_e32 v22, v6, v1
	v_add_f32_e32 v23, v19, v6
	v_add_f32_e32 v6, v6, v1
	;; [unrolled: 1-line block ×3, first 2 shown]
	v_sub_f32_e32 v27, v20, v31
	v_fmac_f32_e32 v4, -0.5, v26
	v_sub_f32_e32 v5, v5, v21
	v_fma_f32 v7, -0.5, v7, v18
	v_add_f32_e32 v18, v3, v21
	v_fma_f32 v21, -0.5, v6, v19
	v_add_f32_e32 v19, v23, v1
	v_add_f32_e32 v1, v30, v20
	v_fmac_f32_e32 v30, -0.5, v24
	v_sub_f32_e32 v0, v0, v2
	v_fmamk_f32 v3, v27, 0x3f5db3d7, v4
	v_fmac_f32_e32 v4, 0xbf5db3d7, v27
	v_add_f32_e32 v6, v1, v31
	v_fmamk_f32 v23, v22, 0xbf5db3d7, v7
	v_fmamk_f32 v1, v0, 0xbf5db3d7, v30
	v_mul_f32_e32 v20, 0xbf5db3d7, v3
	v_mul_f32_e32 v26, 0.5, v3
	v_fmac_f32_e32 v30, 0x3f5db3d7, v0
	v_mul_f32_e32 v24, 0xbf5db3d7, v4
	v_mul_f32_e32 v27, -0.5, v4
	v_fmac_f32_e32 v7, 0x3f5db3d7, v22
	v_fmamk_f32 v22, v5, 0x3f5db3d7, v21
	v_add_f32_e32 v25, v25, v2
	v_fmac_f32_e32 v20, 0.5, v1
	v_fmac_f32_e32 v26, 0x3f5db3d7, v1
	v_fmac_f32_e32 v21, 0xbf5db3d7, v5
	v_fmac_f32_e32 v24, -0.5, v30
	v_fmac_f32_e32 v27, 0x3f5db3d7, v30
	v_add_f32_e32 v0, v18, v6
	v_add_f32_e32 v2, v23, v20
	;; [unrolled: 1-line block ×6, first 2 shown]
	v_sub_f32_e32 v6, v18, v6
	v_sub_f32_e32 v18, v23, v20
	;; [unrolled: 1-line block ×6, first 2 shown]
	ds_write2_b64 v56, v[0:1], v[2:3] offset1:16
	ds_write2_b64 v56, v[4:5], v[6:7] offset0:32 offset1:48
	ds_write2_b64 v56, v[18:19], v[20:21] offset0:64 offset1:80
	s_waitcnt lgkmcnt(0)
	s_barrier
	buffer_gl0_inv
	ds_read2_b64 v[0:3], v53 offset1:96
	ds_read2_b64 v[4:7], v17 offset0:64 offset1:160
	ds_read2_b64 v[18:21], v16 offset0:128 offset1:224
	s_waitcnt lgkmcnt(2)
	v_mul_f32_e32 v22, v13, v3
	v_mul_f32_e32 v13, v13, v2
	s_waitcnt lgkmcnt(1)
	v_mul_f32_e32 v23, v15, v5
	v_fmac_f32_e32 v22, v12, v2
	v_mul_f32_e32 v2, v15, v4
	v_fma_f32 v3, v12, v3, -v13
	v_mul_f32_e32 v12, v9, v7
	v_fmac_f32_e32 v23, v14, v4
	s_waitcnt lgkmcnt(0)
	v_mul_f32_e32 v4, v11, v19
	v_fma_f32 v2, v14, v5, -v2
	v_mul_f32_e32 v5, v9, v6
	v_fmac_f32_e32 v12, v8, v6
	v_mul_f32_e32 v6, v11, v18
	v_fmac_f32_e32 v4, v10, v18
	v_mul_f32_e32 v9, v52, v21
	v_fma_f32 v5, v8, v7, -v5
	v_mul_f32_e32 v7, v52, v20
	v_fma_f32 v6, v10, v19, -v6
	v_add_f32_e32 v8, v23, v4
	v_add_f32_e32 v10, v0, v23
	v_fmac_f32_e32 v9, v51, v20
	v_fma_f32 v7, v51, v21, -v7
	v_add_f32_e32 v11, v2, v6
	v_fma_f32 v13, -0.5, v8, v0
	v_sub_f32_e32 v0, v2, v6
	v_add_f32_e32 v8, v10, v4
	v_add_f32_e32 v2, v1, v2
	v_fma_f32 v11, -0.5, v11, v1
	v_sub_f32_e32 v1, v23, v4
	v_fmamk_f32 v10, v0, 0xbf5db3d7, v13
	v_fmac_f32_e32 v13, 0x3f5db3d7, v0
	v_add_f32_e32 v0, v5, v7
	v_add_f32_e32 v14, v2, v6
	;; [unrolled: 1-line block ×4, first 2 shown]
	v_fmamk_f32 v15, v1, 0x3f5db3d7, v11
	v_fmac_f32_e32 v3, -0.5, v0
	v_sub_f32_e32 v0, v12, v9
	v_add_f32_e32 v6, v22, v12
	v_fmac_f32_e32 v22, -0.5, v2
	v_sub_f32_e32 v2, v5, v7
	v_fmac_f32_e32 v11, 0xbf5db3d7, v1
	v_fmamk_f32 v1, v0, 0x3f5db3d7, v3
	v_fmac_f32_e32 v3, 0xbf5db3d7, v0
	v_add_f32_e32 v6, v6, v9
	v_fmamk_f32 v5, v2, 0xbf5db3d7, v22
	v_fmac_f32_e32 v22, 0x3f5db3d7, v2
	v_mul_f32_e32 v9, 0xbf5db3d7, v1
	v_mul_f32_e32 v18, 0.5, v1
	v_mul_f32_e32 v12, 0xbf5db3d7, v3
	v_mul_f32_e32 v19, -0.5, v3
	v_add_f32_e32 v7, v4, v7
	v_fmac_f32_e32 v9, 0.5, v5
	v_fmac_f32_e32 v18, 0x3f5db3d7, v5
	v_fmac_f32_e32 v12, -0.5, v22
	v_fmac_f32_e32 v19, 0x3f5db3d7, v22
	v_add_f32_e32 v0, v8, v6
	v_add_f32_e32 v2, v10, v9
	;; [unrolled: 1-line block ×6, first 2 shown]
	v_sub_f32_e32 v6, v8, v6
	v_sub_f32_e32 v7, v14, v7
	;; [unrolled: 1-line block ×6, first 2 shown]
	ds_write2_b64 v53, v[0:1], v[2:3] offset1:96
	ds_write2_b64 v17, v[4:5], v[6:7] offset0:64 offset1:160
	ds_write2_b64 v16, v[8:9], v[10:11] offset0:128 offset1:224
	s_waitcnt lgkmcnt(0)
	s_barrier
	buffer_gl0_inv
	s_and_b32 exec_lo, exec_lo, vcc_lo
	s_cbranch_execz .LBB0_15
; %bb.14:
	v_add_co_u32 v72, s0, s14, v53
	v_add_co_ci_u32_e64 v73, null, s15, 0, s0
	s_clause 0x7
	global_load_dwordx2 v[21:22], v53, s[14:15]
	global_load_dwordx2 v[23:24], v53, s[14:15] offset:288
	global_load_dwordx2 v[25:26], v53, s[14:15] offset:576
	;; [unrolled: 1-line block ×7, first 2 shown]
	v_add_co_u32 v37, vcc_lo, 0x800, v72
	v_add_co_ci_u32_e32 v38, vcc_lo, 0, v73, vcc_lo
	v_mad_u64_u32 v[0:1], null, s6, v48, 0
	v_mad_u64_u32 v[2:3], null, s4, v54, 0
	s_clause 0x3
	global_load_dwordx2 v[39:40], v[37:38], off offset:256
	global_load_dwordx2 v[41:42], v[37:38], off offset:544
	;; [unrolled: 1-line block ×4, first 2 shown]
	ds_read_b64 v[51:52], v53
	ds_read_b64 v[66:67], v53 offset:2304
	ds_read2_b64 v[8:11], v53 offset0:180 offset1:216
	ds_read2_b64 v[12:15], v17 offset0:124 offset1:196
	;; [unrolled: 1-line block ×3, first 2 shown]
	v_mad_u64_u32 v[4:5], null, s7, v48, v[1:2]
	s_mul_i32 s0, s5, 0x120
	s_mul_hi_u32 s3, s4, 0x120
	s_mul_i32 s2, s4, 0x120
	s_add_i32 s3, s3, s0
	s_mov_b32 s0, 0x1c71c71c
	s_mov_b32 s1, 0x3f5c71c7
	v_mad_u64_u32 v[5:6], null, s5, v54, v[3:4]
	v_mov_b32_e32 v1, v4
	v_lshlrev_b64 v[0:1], 3, v[0:1]
	v_mov_b32_e32 v3, v5
	ds_read2_b64 v[4:7], v53 offset0:108 offset1:144
	v_lshlrev_b64 v[2:3], 3, v[2:3]
	v_add_co_u32 v0, vcc_lo, s12, v0
	v_add_co_ci_u32_e32 v1, vcc_lo, s13, v1, vcc_lo
	v_add_co_u32 v47, vcc_lo, v0, v2
	v_add_co_ci_u32_e32 v48, vcc_lo, v1, v3, vcc_lo
	ds_read2_b64 v[0:3], v53 offset0:36 offset1:72
	v_add_co_u32 v49, vcc_lo, v47, s2
	v_add_co_ci_u32_e32 v50, vcc_lo, s3, v48, vcc_lo
	v_add_co_u32 v54, vcc_lo, v49, s2
	v_add_co_ci_u32_e32 v55, vcc_lo, s3, v50, vcc_lo
	;; [unrolled: 2-line block ×9, first 2 shown]
	s_waitcnt vmcnt(11) lgkmcnt(6)
	v_mul_f32_e32 v74, v52, v22
	s_waitcnt vmcnt(10) lgkmcnt(0)
	v_mul_f32_e32 v75, v1, v24
	v_mul_f32_e32 v22, v51, v22
	s_waitcnt vmcnt(9)
	v_mul_f32_e32 v76, v3, v26
	v_mul_f32_e32 v24, v0, v24
	s_waitcnt vmcnt(8)
	v_mul_f32_e32 v77, v5, v28
	v_mul_f32_e32 v26, v2, v26
	v_mul_f32_e32 v28, v4, v28
	v_fmac_f32_e32 v74, v51, v21
	s_waitcnt vmcnt(7)
	v_mul_f32_e32 v78, v7, v30
	v_mul_f32_e32 v30, v6, v30
	v_fmac_f32_e32 v75, v0, v23
	s_waitcnt vmcnt(6)
	v_mul_f32_e32 v79, v9, v32
	v_mul_f32_e32 v32, v8, v32
	v_fma_f32 v21, v21, v52, -v22
	v_fmac_f32_e32 v76, v2, v25
	s_waitcnt vmcnt(5)
	v_mul_f32_e32 v80, v11, v34
	v_mul_f32_e32 v34, v10, v34
	s_waitcnt vmcnt(4)
	v_mul_f32_e32 v81, v13, v36
	v_mul_f32_e32 v36, v12, v36
	v_fma_f32 v22, v23, v1, -v24
	v_fmac_f32_e32 v77, v4, v27
	v_fma_f32 v23, v25, v3, -v26
	v_fma_f32 v24, v27, v5, -v28
	v_cvt_f64_f32_e32 v[0:1], v74
	s_waitcnt vmcnt(3)
	v_mul_f32_e32 v74, v67, v40
	v_mul_f32_e32 v40, v66, v40
	v_fmac_f32_e32 v78, v6, v29
	v_fma_f32 v25, v29, v7, -v30
	v_cvt_f64_f32_e32 v[4:5], v75
	s_waitcnt vmcnt(2)
	v_mul_f32_e32 v75, v15, v42
	v_mul_f32_e32 v42, v14, v42
	v_fmac_f32_e32 v79, v8, v31
	v_fma_f32 v29, v31, v9, -v32
	v_cvt_f64_f32_e32 v[2:3], v21
	v_cvt_f64_f32_e32 v[8:9], v76
	s_waitcnt vmcnt(1)
	v_mul_f32_e32 v76, v18, v44
	v_mul_f32_e32 v44, v17, v44
	v_fmac_f32_e32 v80, v10, v33
	v_fma_f32 v33, v33, v11, -v34
	v_fmac_f32_e32 v81, v12, v35
	v_fma_f32 v51, v35, v13, -v36
	v_cvt_f64_f32_e32 v[6:7], v22
	v_cvt_f64_f32_e32 v[12:13], v77
	s_waitcnt vmcnt(0)
	v_mul_f32_e32 v77, v20, v46
	v_mul_f32_e32 v46, v19, v46
	v_cvt_f64_f32_e32 v[10:11], v23
	v_cvt_f64_f32_e32 v[21:22], v24
	v_fmac_f32_e32 v74, v66, v39
	v_fma_f32 v39, v39, v67, -v40
	v_cvt_f64_f32_e32 v[23:24], v78
	v_cvt_f64_f32_e32 v[25:26], v25
	v_fmac_f32_e32 v75, v14, v41
	v_fma_f32 v40, v41, v15, -v42
	v_cvt_f64_f32_e32 v[27:28], v79
	v_cvt_f64_f32_e32 v[29:30], v29
	v_fmac_f32_e32 v76, v17, v43
	v_fma_f32 v43, v43, v18, -v44
	v_cvt_f64_f32_e32 v[31:32], v80
	v_cvt_f64_f32_e32 v[33:34], v33
	v_fmac_f32_e32 v77, v19, v45
	v_fma_f32 v66, v45, v20, -v46
	v_cvt_f64_f32_e32 v[35:36], v81
	v_cvt_f64_f32_e32 v[51:52], v51
	;; [unrolled: 1-line block ×10, first 2 shown]
	v_mul_f64 v[0:1], v[0:1], s[0:1]
	v_mul_f64 v[2:3], v[2:3], s[0:1]
	;; [unrolled: 1-line block ×24, first 2 shown]
	v_cvt_f32_f64_e32 v0, v[0:1]
	v_cvt_f32_f64_e32 v1, v[2:3]
	;; [unrolled: 1-line block ×24, first 2 shown]
	v_add_co_u32 v25, vcc_lo, v70, s2
	v_add_co_ci_u32_e32 v26, vcc_lo, s3, v71, vcc_lo
	v_add_co_u32 v27, vcc_lo, v25, s2
	v_add_co_ci_u32_e32 v28, vcc_lo, s3, v26, vcc_lo
	global_store_dwordx2 v[47:48], v[0:1], off
	global_store_dwordx2 v[49:50], v[2:3], off
	;; [unrolled: 1-line block ×12, first 2 shown]
	global_load_dwordx2 v[4:5], v[37:38], off offset:1408
	ds_read2_b64 v[0:3], v16 offset0:176 offset1:212
	s_waitcnt vmcnt(0) lgkmcnt(0)
	v_mul_f32_e32 v6, v1, v5
	v_mul_f32_e32 v5, v0, v5
	v_fmac_f32_e32 v6, v0, v4
	v_fma_f32 v4, v4, v1, -v5
	v_cvt_f64_f32_e32 v[0:1], v6
	v_cvt_f64_f32_e32 v[4:5], v4
	v_mul_f64 v[0:1], v[0:1], s[0:1]
	v_mul_f64 v[4:5], v[4:5], s[0:1]
	v_cvt_f32_f64_e32 v0, v[0:1]
	v_cvt_f32_f64_e32 v1, v[4:5]
	v_add_co_u32 v4, vcc_lo, v27, s2
	v_add_co_ci_u32_e32 v5, vcc_lo, s3, v28, vcc_lo
	global_store_dwordx2 v[4:5], v[0:1], off
	global_load_dwordx2 v[0:1], v[37:38], off offset:1696
	v_add_co_u32 v4, vcc_lo, v4, s2
	v_add_co_ci_u32_e32 v5, vcc_lo, s3, v5, vcc_lo
	s_waitcnt vmcnt(0)
	v_mul_f32_e32 v6, v3, v1
	v_mul_f32_e32 v1, v2, v1
	v_fmac_f32_e32 v6, v2, v0
	v_fma_f32 v2, v0, v3, -v1
	v_cvt_f64_f32_e32 v[0:1], v6
	v_cvt_f64_f32_e32 v[2:3], v2
	v_mul_f64 v[0:1], v[0:1], s[0:1]
	v_mul_f64 v[2:3], v[2:3], s[0:1]
	v_cvt_f32_f64_e32 v0, v[0:1]
	v_cvt_f32_f64_e32 v1, v[2:3]
	global_store_dwordx2 v[4:5], v[0:1], off
	global_load_dwordx2 v[6:7], v[37:38], off offset:1984
	v_add_nc_u32_e32 v0, 0xc00, v53
	v_add_co_u32 v4, vcc_lo, v4, s2
	v_add_co_ci_u32_e32 v5, vcc_lo, s3, v5, vcc_lo
	ds_read2_b64 v[0:3], v0 offset0:120 offset1:156
	s_waitcnt vmcnt(0) lgkmcnt(0)
	v_mul_f32_e32 v8, v1, v7
	v_mul_f32_e32 v7, v0, v7
	v_fmac_f32_e32 v8, v0, v6
	v_fma_f32 v6, v6, v1, -v7
	v_cvt_f64_f32_e32 v[0:1], v8
	v_cvt_f64_f32_e32 v[6:7], v6
	v_mul_f64 v[0:1], v[0:1], s[0:1]
	v_mul_f64 v[6:7], v[6:7], s[0:1]
	v_cvt_f32_f64_e32 v0, v[0:1]
	v_cvt_f32_f64_e32 v1, v[6:7]
	v_add_co_u32 v6, vcc_lo, 0x1000, v72
	v_add_co_ci_u32_e32 v7, vcc_lo, 0, v73, vcc_lo
	global_store_dwordx2 v[4:5], v[0:1], off
	global_load_dwordx2 v[0:1], v[6:7], off offset:224
	s_waitcnt vmcnt(0)
	v_mul_f32_e32 v6, v3, v1
	v_mul_f32_e32 v1, v2, v1
	v_fmac_f32_e32 v6, v2, v0
	v_fma_f32 v2, v0, v3, -v1
	v_cvt_f64_f32_e32 v[0:1], v6
	v_cvt_f64_f32_e32 v[2:3], v2
	v_mul_f64 v[0:1], v[0:1], s[0:1]
	v_mul_f64 v[2:3], v[2:3], s[0:1]
	v_cvt_f32_f64_e32 v0, v[0:1]
	v_cvt_f32_f64_e32 v1, v[2:3]
	v_add_co_u32 v2, vcc_lo, v4, s2
	v_add_co_ci_u32_e32 v3, vcc_lo, s3, v5, vcc_lo
	global_store_dwordx2 v[2:3], v[0:1], off
.LBB0_15:
	s_endpgm
	.section	.rodata,"a",@progbits
	.p2align	6, 0x0
	.amdhsa_kernel bluestein_single_fwd_len576_dim1_sp_op_CI_CI
		.amdhsa_group_segment_fixed_size 4608
		.amdhsa_private_segment_fixed_size 0
		.amdhsa_kernarg_size 104
		.amdhsa_user_sgpr_count 6
		.amdhsa_user_sgpr_private_segment_buffer 1
		.amdhsa_user_sgpr_dispatch_ptr 0
		.amdhsa_user_sgpr_queue_ptr 0
		.amdhsa_user_sgpr_kernarg_segment_ptr 1
		.amdhsa_user_sgpr_dispatch_id 0
		.amdhsa_user_sgpr_flat_scratch_init 0
		.amdhsa_user_sgpr_private_segment_size 0
		.amdhsa_wavefront_size32 1
		.amdhsa_uses_dynamic_stack 0
		.amdhsa_system_sgpr_private_segment_wavefront_offset 0
		.amdhsa_system_sgpr_workgroup_id_x 1
		.amdhsa_system_sgpr_workgroup_id_y 0
		.amdhsa_system_sgpr_workgroup_id_z 0
		.amdhsa_system_sgpr_workgroup_info 0
		.amdhsa_system_vgpr_workitem_id 0
		.amdhsa_next_free_vgpr 105
		.amdhsa_next_free_sgpr 16
		.amdhsa_reserve_vcc 1
		.amdhsa_reserve_flat_scratch 0
		.amdhsa_float_round_mode_32 0
		.amdhsa_float_round_mode_16_64 0
		.amdhsa_float_denorm_mode_32 3
		.amdhsa_float_denorm_mode_16_64 3
		.amdhsa_dx10_clamp 1
		.amdhsa_ieee_mode 1
		.amdhsa_fp16_overflow 0
		.amdhsa_workgroup_processor_mode 1
		.amdhsa_memory_ordered 1
		.amdhsa_forward_progress 0
		.amdhsa_shared_vgpr_count 0
		.amdhsa_exception_fp_ieee_invalid_op 0
		.amdhsa_exception_fp_denorm_src 0
		.amdhsa_exception_fp_ieee_div_zero 0
		.amdhsa_exception_fp_ieee_overflow 0
		.amdhsa_exception_fp_ieee_underflow 0
		.amdhsa_exception_fp_ieee_inexact 0
		.amdhsa_exception_int_div_zero 0
	.end_amdhsa_kernel
	.text
.Lfunc_end0:
	.size	bluestein_single_fwd_len576_dim1_sp_op_CI_CI, .Lfunc_end0-bluestein_single_fwd_len576_dim1_sp_op_CI_CI
                                        ; -- End function
	.section	.AMDGPU.csdata,"",@progbits
; Kernel info:
; codeLenInByte = 8016
; NumSgprs: 18
; NumVgprs: 105
; ScratchSize: 0
; MemoryBound: 0
; FloatMode: 240
; IeeeMode: 1
; LDSByteSize: 4608 bytes/workgroup (compile time only)
; SGPRBlocks: 2
; VGPRBlocks: 13
; NumSGPRsForWavesPerEU: 18
; NumVGPRsForWavesPerEU: 105
; Occupancy: 9
; WaveLimiterHint : 1
; COMPUTE_PGM_RSRC2:SCRATCH_EN: 0
; COMPUTE_PGM_RSRC2:USER_SGPR: 6
; COMPUTE_PGM_RSRC2:TRAP_HANDLER: 0
; COMPUTE_PGM_RSRC2:TGID_X_EN: 1
; COMPUTE_PGM_RSRC2:TGID_Y_EN: 0
; COMPUTE_PGM_RSRC2:TGID_Z_EN: 0
; COMPUTE_PGM_RSRC2:TIDIG_COMP_CNT: 0
	.text
	.p2alignl 6, 3214868480
	.fill 48, 4, 3214868480
	.type	__hip_cuid_3c6df2cf1536d477,@object ; @__hip_cuid_3c6df2cf1536d477
	.section	.bss,"aw",@nobits
	.globl	__hip_cuid_3c6df2cf1536d477
__hip_cuid_3c6df2cf1536d477:
	.byte	0                               ; 0x0
	.size	__hip_cuid_3c6df2cf1536d477, 1

	.ident	"AMD clang version 19.0.0git (https://github.com/RadeonOpenCompute/llvm-project roc-6.4.0 25133 c7fe45cf4b819c5991fe208aaa96edf142730f1d)"
	.section	".note.GNU-stack","",@progbits
	.addrsig
	.addrsig_sym __hip_cuid_3c6df2cf1536d477
	.amdgpu_metadata
---
amdhsa.kernels:
  - .args:
      - .actual_access:  read_only
        .address_space:  global
        .offset:         0
        .size:           8
        .value_kind:     global_buffer
      - .actual_access:  read_only
        .address_space:  global
        .offset:         8
        .size:           8
        .value_kind:     global_buffer
      - .actual_access:  read_only
        .address_space:  global
        .offset:         16
        .size:           8
        .value_kind:     global_buffer
      - .actual_access:  read_only
        .address_space:  global
        .offset:         24
        .size:           8
        .value_kind:     global_buffer
      - .actual_access:  read_only
        .address_space:  global
        .offset:         32
        .size:           8
        .value_kind:     global_buffer
      - .offset:         40
        .size:           8
        .value_kind:     by_value
      - .address_space:  global
        .offset:         48
        .size:           8
        .value_kind:     global_buffer
      - .address_space:  global
        .offset:         56
        .size:           8
        .value_kind:     global_buffer
      - .address_space:  global
        .offset:         64
        .size:           8
        .value_kind:     global_buffer
      - .address_space:  global
        .offset:         72
        .size:           8
        .value_kind:     global_buffer
      - .offset:         80
        .size:           4
        .value_kind:     by_value
      - .address_space:  global
        .offset:         88
        .size:           8
        .value_kind:     global_buffer
      - .address_space:  global
        .offset:         96
        .size:           8
        .value_kind:     global_buffer
    .group_segment_fixed_size: 4608
    .kernarg_segment_align: 8
    .kernarg_segment_size: 104
    .language:       OpenCL C
    .language_version:
      - 2
      - 0
    .max_flat_workgroup_size: 96
    .name:           bluestein_single_fwd_len576_dim1_sp_op_CI_CI
    .private_segment_fixed_size: 0
    .sgpr_count:     18
    .sgpr_spill_count: 0
    .symbol:         bluestein_single_fwd_len576_dim1_sp_op_CI_CI.kd
    .uniform_work_group_size: 1
    .uses_dynamic_stack: false
    .vgpr_count:     105
    .vgpr_spill_count: 0
    .wavefront_size: 32
    .workgroup_processor_mode: 1
amdhsa.target:   amdgcn-amd-amdhsa--gfx1030
amdhsa.version:
  - 1
  - 2
...

	.end_amdgpu_metadata
